;; amdgpu-corpus repo=ROCm/hip-tests kind=compiled arch=gfx1250 opt=O3
	.amdgcn_target "amdgcn-amd-amdhsa--gfx1250"
	.amdhsa_code_object_version 6
	.text
	.protected	_Z19sharedMemReadSpeed1Pfm ; -- Begin function _Z19sharedMemReadSpeed1Pfm
	.globl	_Z19sharedMemReadSpeed1Pfm
	.p2align	8
	.type	_Z19sharedMemReadSpeed1Pfm,@function
_Z19sharedMemReadSpeed1Pfm:             ; @_Z19sharedMemReadSpeed1Pfm
; %bb.0:
	s_clause 0x1
	s_load_b32 s2, s[0:1], 0x1c
	s_load_b128 s[4:7], s[0:1], 0x0
	s_wait_xcnt 0x0
	s_bfe_u32 s0, ttmp6, 0x4000c
	s_and_b32 s1, ttmp6, 15
	s_add_co_i32 s0, s0, 1
	s_getreg_b32 s3, hwreg(HW_REG_IB_STS2, 6, 4)
	s_mul_i32 s0, ttmp9, s0
	v_cvt_f32_u32_e32 v3, v0
	s_add_co_i32 s1, s1, s0
	v_dual_mov_b32 v1, 0 :: v_dual_lshlrev_b32 v2, 2, v0
	ds_store_2addr_stride64_b32 v2, v3, v3 offset1:1
	ds_store_2addr_stride64_b32 v2, v3, v3 offset0:2 offset1:3
	ds_store_2addr_stride64_b32 v2, v3, v3 offset0:4 offset1:5
	;; [unrolled: 1-line block ×15, first 2 shown]
	s_wait_dscnt 0x0
	s_barrier_signal -1
	s_barrier_wait -1
	s_wait_kmcnt 0x0
	s_and_b32 s0, s2, 0xffff
	s_cmp_eq_u32 s3, 0
	s_cselect_b32 s1, ttmp9, s1
	s_delay_alu instid0(SALU_CYCLE_1) | instskip(SKIP_1) | instid1(VALU_DEP_1)
	v_mad_u32 v0, s1, s0, v0
	s_mov_b32 s0, exec_lo
	v_cmpx_gt_u64_e64 s[6:7], v[0:1]
	s_cbranch_execz .LBB0_2
; %bb.1:
	ds_load_2addr_stride64_b32 v[4:5], v2 offset0:2 offset1:3
	ds_load_2addr_stride64_b32 v[6:7], v2 offset0:6 offset1:7
	ds_load_2addr_stride64_b32 v[8:9], v2 offset0:10 offset1:11
	ds_load_2addr_stride64_b32 v[10:11], v2 offset0:4 offset1:5
	ds_load_2addr_stride64_b32 v[12:13], v2 offset1:1
	ds_load_2addr_stride64_b32 v[14:15], v2 offset0:14 offset1:15
	ds_load_2addr_stride64_b32 v[16:17], v2 offset0:12 offset1:13
	;; [unrolled: 1-line block ×9, first 2 shown]
	v_lshl_add_u64 v[0:1], v[0:1], 2, s[4:5]
	s_wait_dscnt 0xd
	v_dual_mov_b32 v32, v5 :: v_dual_mov_b32 v33, v4
	s_wait_dscnt 0xc
	v_dual_mov_b32 v4, v7 :: v_dual_mov_b32 v5, v6
	;; [unrolled: 2-line block ×3, first 2 shown]
	v_dual_mov_b32 v35, v12 :: v_dual_mov_b32 v7, v8
	v_dual_mov_b32 v8, v11 :: v_dual_mov_b32 v9, v10
	v_pk_add_f32 v[10:11], v[32:33], 0 op_sel_hi:[1,0]
	s_delay_alu instid0(VALU_DEP_3)
	v_pk_add_f32 v[12:13], v[34:35], 0 op_sel_hi:[1,0]
	s_wait_dscnt 0x6
	v_dual_mov_b32 v32, v15 :: v_dual_mov_b32 v34, v19
	v_dual_mov_b32 v35, v18 :: v_dual_mov_b32 v33, v14
	v_pk_add_f32 v[4:5], v[10:11], v[4:5]
	v_pk_add_f32 v[8:9], v[12:13], v[8:9]
	v_dual_mov_b32 v10, v17 :: v_dual_mov_b32 v11, v16
	s_wait_dscnt 0x2
	v_dual_mov_b32 v12, v27 :: v_dual_mov_b32 v13, v26
	v_pk_add_f32 v[4:5], v[4:5], v[6:7]
	v_pk_add_f32 v[6:7], v[8:9], v[34:35]
	ds_load_2addr_stride64_b32 v[8:9], v2 offset0:26 offset1:27
	ds_load_2addr_stride64_b32 v[2:3], v2 offset0:30 offset1:31
	v_dual_mov_b32 v14, v25 :: v_dual_mov_b32 v15, v24
	v_pk_add_f32 v[4:5], v[4:5], v[32:33]
	v_pk_add_f32 v[6:7], v[6:7], v[10:11]
	v_dual_mov_b32 v10, v21 :: v_dual_mov_b32 v11, v20
	s_delay_alu instid0(VALU_DEP_2) | instskip(SKIP_1) | instid1(VALU_DEP_3)
	v_pk_add_f32 v[6:7], v[6:7], v[12:13]
	v_dual_mov_b32 v12, v23 :: v_dual_mov_b32 v13, v22
	v_pk_add_f32 v[4:5], v[4:5], v[10:11]
	s_wait_dscnt 0x2
	v_dual_mov_b32 v10, v31 :: v_dual_mov_b32 v11, v30
	v_pk_add_f32 v[6:7], v[6:7], v[14:15]
	s_delay_alu instid0(VALU_DEP_3) | instskip(SKIP_2) | instid1(VALU_DEP_3)
	v_pk_add_f32 v[4:5], v[4:5], v[12:13]
	s_wait_dscnt 0x1
	v_dual_mov_b32 v12, v9 :: v_dual_mov_b32 v13, v8
	v_pk_add_f32 v[6:7], v[6:7], v[10:11]
	v_dual_mov_b32 v8, v29 :: v_dual_mov_b32 v9, v28
	s_wait_dscnt 0x0
	v_dual_mov_b32 v10, v3 :: v_dual_mov_b32 v11, v2
	v_pk_add_f32 v[4:5], v[4:5], v[12:13]
	s_delay_alu instid0(VALU_DEP_3) | instskip(NEXT) | instid1(VALU_DEP_2)
	v_pk_add_f32 v[2:3], v[6:7], v[8:9]
	v_pk_add_f32 v[4:5], v[4:5], v[10:11]
	s_delay_alu instid0(VALU_DEP_2) | instskip(NEXT) | instid1(VALU_DEP_1)
	v_add_f32_e32 v2, v2, v3
	v_add_f32_e32 v2, v5, v2
	s_delay_alu instid0(VALU_DEP_1)
	v_add_f32_e32 v2, v4, v2
	global_store_b32 v[0:1], v2, off
.LBB0_2:
	s_endpgm
	.section	.rodata,"a",@progbits
	.p2align	6, 0x0
	.amdhsa_kernel _Z19sharedMemReadSpeed1Pfm
		.amdhsa_group_segment_fixed_size 8192
		.amdhsa_private_segment_fixed_size 0
		.amdhsa_kernarg_size 272
		.amdhsa_user_sgpr_count 2
		.amdhsa_user_sgpr_dispatch_ptr 0
		.amdhsa_user_sgpr_queue_ptr 0
		.amdhsa_user_sgpr_kernarg_segment_ptr 1
		.amdhsa_user_sgpr_dispatch_id 0
		.amdhsa_user_sgpr_kernarg_preload_length 0
		.amdhsa_user_sgpr_kernarg_preload_offset 0
		.amdhsa_user_sgpr_private_segment_size 0
		.amdhsa_wavefront_size32 1
		.amdhsa_uses_dynamic_stack 0
		.amdhsa_enable_private_segment 0
		.amdhsa_system_sgpr_workgroup_id_x 1
		.amdhsa_system_sgpr_workgroup_id_y 0
		.amdhsa_system_sgpr_workgroup_id_z 0
		.amdhsa_system_sgpr_workgroup_info 0
		.amdhsa_system_vgpr_workitem_id 0
		.amdhsa_next_free_vgpr 36
		.amdhsa_next_free_sgpr 8
		.amdhsa_named_barrier_count 0
		.amdhsa_reserve_vcc 0
		.amdhsa_float_round_mode_32 0
		.amdhsa_float_round_mode_16_64 0
		.amdhsa_float_denorm_mode_32 3
		.amdhsa_float_denorm_mode_16_64 3
		.amdhsa_fp16_overflow 0
		.amdhsa_memory_ordered 1
		.amdhsa_forward_progress 1
		.amdhsa_inst_pref_size 6
		.amdhsa_round_robin_scheduling 0
		.amdhsa_exception_fp_ieee_invalid_op 0
		.amdhsa_exception_fp_denorm_src 0
		.amdhsa_exception_fp_ieee_div_zero 0
		.amdhsa_exception_fp_ieee_overflow 0
		.amdhsa_exception_fp_ieee_underflow 0
		.amdhsa_exception_fp_ieee_inexact 0
		.amdhsa_exception_int_div_zero 0
	.end_amdhsa_kernel
	.text
.Lfunc_end0:
	.size	_Z19sharedMemReadSpeed1Pfm, .Lfunc_end0-_Z19sharedMemReadSpeed1Pfm
                                        ; -- End function
	.set _Z19sharedMemReadSpeed1Pfm.num_vgpr, 36
	.set _Z19sharedMemReadSpeed1Pfm.num_agpr, 0
	.set _Z19sharedMemReadSpeed1Pfm.numbered_sgpr, 8
	.set _Z19sharedMemReadSpeed1Pfm.num_named_barrier, 0
	.set _Z19sharedMemReadSpeed1Pfm.private_seg_size, 0
	.set _Z19sharedMemReadSpeed1Pfm.uses_vcc, 0
	.set _Z19sharedMemReadSpeed1Pfm.uses_flat_scratch, 0
	.set _Z19sharedMemReadSpeed1Pfm.has_dyn_sized_stack, 0
	.set _Z19sharedMemReadSpeed1Pfm.has_recursion, 0
	.set _Z19sharedMemReadSpeed1Pfm.has_indirect_call, 0
	.section	.AMDGPU.csdata,"",@progbits
; Kernel info:
; codeLenInByte = 744
; TotalNumSgprs: 8
; NumVgprs: 36
; ScratchSize: 0
; MemoryBound: 0
; FloatMode: 240
; IeeeMode: 1
; LDSByteSize: 8192 bytes/workgroup (compile time only)
; SGPRBlocks: 0
; VGPRBlocks: 2
; NumSGPRsForWavesPerEU: 8
; NumVGPRsForWavesPerEU: 36
; NamedBarCnt: 0
; Occupancy: 16
; WaveLimiterHint : 0
; COMPUTE_PGM_RSRC2:SCRATCH_EN: 0
; COMPUTE_PGM_RSRC2:USER_SGPR: 2
; COMPUTE_PGM_RSRC2:TRAP_HANDLER: 0
; COMPUTE_PGM_RSRC2:TGID_X_EN: 1
; COMPUTE_PGM_RSRC2:TGID_Y_EN: 0
; COMPUTE_PGM_RSRC2:TGID_Z_EN: 0
; COMPUTE_PGM_RSRC2:TIDIG_COMP_CNT: 0
	.text
	.protected	_Z19sharedMemReadSpeed2Pfm ; -- Begin function _Z19sharedMemReadSpeed2Pfm
	.globl	_Z19sharedMemReadSpeed2Pfm
	.p2align	8
	.type	_Z19sharedMemReadSpeed2Pfm,@function
_Z19sharedMemReadSpeed2Pfm:             ; @_Z19sharedMemReadSpeed2Pfm
; %bb.0:
	s_load_b32 s4, s[0:1], 0x1c
	s_bfe_u32 s2, ttmp6, 0x4000c
	v_cvt_f32_u32_e32 v1, v0
	v_dual_mov_b32 v3, 0 :: v_dual_lshlrev_b32 v2, 2, v0
	s_add_co_i32 s2, s2, 1
	s_and_b32 s3, ttmp6, 15
	s_mul_i32 s2, ttmp9, s2
	s_getreg_b32 s5, hwreg(HW_REG_IB_STS2, 6, 4)
	s_add_co_i32 s3, s3, s2
	ds_store_2addr_stride64_b32 v2, v1, v1 offset1:1
	ds_store_2addr_stride64_b32 v2, v1, v1 offset0:2 offset1:3
	v_mov_b32_e32 v2, 0
	s_cmp_eq_u32 s5, 0
	s_mov_b32 s2, 0
	s_cselect_b32 s5, ttmp9, s3
	s_wait_dscnt 0x0
	s_barrier_signal -1
	s_barrier_wait -1
.LBB1_1:                                ; =>This Inner Loop Header: Depth=1
	v_mov_b32_e32 v1, s2
	s_add_co_i32 s2, s2, 32
	ds_load_b128 v[4:7], v1
	ds_load_b128 v[8:11], v1 offset:16
	s_cmp_eq_u32 s2, 0x400
	s_wait_dscnt 0x1
	v_pk_add_f32 v[2:3], v[2:3], v[4:5]
	s_delay_alu instid0(VALU_DEP_1) | instskip(SKIP_1) | instid1(VALU_DEP_1)
	v_pk_add_f32 v[2:3], v[2:3], v[6:7]
	s_wait_dscnt 0x0
	v_pk_add_f32 v[2:3], v[2:3], v[8:9]
	s_delay_alu instid0(VALU_DEP_1)
	v_pk_add_f32 v[2:3], v[2:3], v[10:11]
	s_cbranch_scc0 .LBB1_1
; %bb.2:
	s_wait_xcnt 0x0
	s_load_b128 s[0:3], s[0:1], 0x0
	s_wait_kmcnt 0x0
	s_and_b32 s4, 0xffff, s4
	v_mov_b32_e32 v1, 0
	v_mad_u32 v0, s5, s4, v0
	s_delay_alu instid0(VALU_DEP_1)
	v_cmp_gt_u64_e32 vcc_lo, s[2:3], v[0:1]
	s_and_saveexec_b32 s2, vcc_lo
	s_cbranch_execz .LBB1_4
; %bb.3:
	v_lshl_add_u64 v[0:1], v[0:1], 2, s[0:1]
	v_add_f32_e32 v2, v2, v3
	global_store_b32 v[0:1], v2, off
.LBB1_4:
	s_endpgm
	.section	.rodata,"a",@progbits
	.p2align	6, 0x0
	.amdhsa_kernel _Z19sharedMemReadSpeed2Pfm
		.amdhsa_group_segment_fixed_size 1024
		.amdhsa_private_segment_fixed_size 0
		.amdhsa_kernarg_size 272
		.amdhsa_user_sgpr_count 2
		.amdhsa_user_sgpr_dispatch_ptr 0
		.amdhsa_user_sgpr_queue_ptr 0
		.amdhsa_user_sgpr_kernarg_segment_ptr 1
		.amdhsa_user_sgpr_dispatch_id 0
		.amdhsa_user_sgpr_kernarg_preload_length 0
		.amdhsa_user_sgpr_kernarg_preload_offset 0
		.amdhsa_user_sgpr_private_segment_size 0
		.amdhsa_wavefront_size32 1
		.amdhsa_uses_dynamic_stack 0
		.amdhsa_enable_private_segment 0
		.amdhsa_system_sgpr_workgroup_id_x 1
		.amdhsa_system_sgpr_workgroup_id_y 0
		.amdhsa_system_sgpr_workgroup_id_z 0
		.amdhsa_system_sgpr_workgroup_info 0
		.amdhsa_system_vgpr_workitem_id 0
		.amdhsa_next_free_vgpr 12
		.amdhsa_next_free_sgpr 6
		.amdhsa_named_barrier_count 0
		.amdhsa_reserve_vcc 1
		.amdhsa_float_round_mode_32 0
		.amdhsa_float_round_mode_16_64 0
		.amdhsa_float_denorm_mode_32 3
		.amdhsa_float_denorm_mode_16_64 3
		.amdhsa_fp16_overflow 0
		.amdhsa_memory_ordered 1
		.amdhsa_forward_progress 1
		.amdhsa_inst_pref_size 2
		.amdhsa_round_robin_scheduling 0
		.amdhsa_exception_fp_ieee_invalid_op 0
		.amdhsa_exception_fp_denorm_src 0
		.amdhsa_exception_fp_ieee_div_zero 0
		.amdhsa_exception_fp_ieee_overflow 0
		.amdhsa_exception_fp_ieee_underflow 0
		.amdhsa_exception_fp_ieee_inexact 0
		.amdhsa_exception_int_div_zero 0
	.end_amdhsa_kernel
	.text
.Lfunc_end1:
	.size	_Z19sharedMemReadSpeed2Pfm, .Lfunc_end1-_Z19sharedMemReadSpeed2Pfm
                                        ; -- End function
	.set _Z19sharedMemReadSpeed2Pfm.num_vgpr, 12
	.set _Z19sharedMemReadSpeed2Pfm.num_agpr, 0
	.set _Z19sharedMemReadSpeed2Pfm.numbered_sgpr, 6
	.set _Z19sharedMemReadSpeed2Pfm.num_named_barrier, 0
	.set _Z19sharedMemReadSpeed2Pfm.private_seg_size, 0
	.set _Z19sharedMemReadSpeed2Pfm.uses_vcc, 1
	.set _Z19sharedMemReadSpeed2Pfm.uses_flat_scratch, 0
	.set _Z19sharedMemReadSpeed2Pfm.has_dyn_sized_stack, 0
	.set _Z19sharedMemReadSpeed2Pfm.has_recursion, 0
	.set _Z19sharedMemReadSpeed2Pfm.has_indirect_call, 0
	.section	.AMDGPU.csdata,"",@progbits
; Kernel info:
; codeLenInByte = 256
; TotalNumSgprs: 8
; NumVgprs: 12
; ScratchSize: 0
; MemoryBound: 0
; FloatMode: 240
; IeeeMode: 1
; LDSByteSize: 1024 bytes/workgroup (compile time only)
; SGPRBlocks: 0
; VGPRBlocks: 0
; NumSGPRsForWavesPerEU: 8
; NumVGPRsForWavesPerEU: 12
; NamedBarCnt: 0
; Occupancy: 16
; WaveLimiterHint : 0
; COMPUTE_PGM_RSRC2:SCRATCH_EN: 0
; COMPUTE_PGM_RSRC2:USER_SGPR: 2
; COMPUTE_PGM_RSRC2:TRAP_HANDLER: 0
; COMPUTE_PGM_RSRC2:TGID_X_EN: 1
; COMPUTE_PGM_RSRC2:TGID_Y_EN: 0
; COMPUTE_PGM_RSRC2:TGID_Z_EN: 0
; COMPUTE_PGM_RSRC2:TIDIG_COMP_CNT: 0
	.text
	.p2alignl 7, 3214868480
	.fill 96, 4, 3214868480
	.section	.AMDGPU.gpr_maximums,"",@progbits
	.set amdgpu.max_num_vgpr, 0
	.set amdgpu.max_num_agpr, 0
	.set amdgpu.max_num_sgpr, 0
	.text
	.type	__hip_cuid_e884e95199a85d49,@object ; @__hip_cuid_e884e95199a85d49
	.section	.bss,"aw",@nobits
	.globl	__hip_cuid_e884e95199a85d49
__hip_cuid_e884e95199a85d49:
	.byte	0                               ; 0x0
	.size	__hip_cuid_e884e95199a85d49, 1

	.ident	"AMD clang version 22.0.0git (https://github.com/RadeonOpenCompute/llvm-project roc-7.2.4 26084 f58b06dce1f9c15707c5f808fd002e18c2accf7e)"
	.section	".note.GNU-stack","",@progbits
	.addrsig
	.addrsig_sym __hip_cuid_e884e95199a85d49
	.amdgpu_metadata
---
amdhsa.kernels:
  - .args:
      - .address_space:  global
        .offset:         0
        .size:           8
        .value_kind:     global_buffer
      - .offset:         8
        .size:           8
        .value_kind:     by_value
      - .offset:         16
        .size:           4
        .value_kind:     hidden_block_count_x
      - .offset:         20
        .size:           4
        .value_kind:     hidden_block_count_y
      - .offset:         24
        .size:           4
        .value_kind:     hidden_block_count_z
      - .offset:         28
        .size:           2
        .value_kind:     hidden_group_size_x
      - .offset:         30
        .size:           2
        .value_kind:     hidden_group_size_y
      - .offset:         32
        .size:           2
        .value_kind:     hidden_group_size_z
      - .offset:         34
        .size:           2
        .value_kind:     hidden_remainder_x
      - .offset:         36
        .size:           2
        .value_kind:     hidden_remainder_y
      - .offset:         38
        .size:           2
        .value_kind:     hidden_remainder_z
      - .offset:         56
        .size:           8
        .value_kind:     hidden_global_offset_x
      - .offset:         64
        .size:           8
        .value_kind:     hidden_global_offset_y
      - .offset:         72
        .size:           8
        .value_kind:     hidden_global_offset_z
      - .offset:         80
        .size:           2
        .value_kind:     hidden_grid_dims
    .group_segment_fixed_size: 8192
    .kernarg_segment_align: 8
    .kernarg_segment_size: 272
    .language:       OpenCL C
    .language_version:
      - 2
      - 0
    .max_flat_workgroup_size: 1024
    .name:           _Z19sharedMemReadSpeed1Pfm
    .private_segment_fixed_size: 0
    .sgpr_count:     8
    .sgpr_spill_count: 0
    .symbol:         _Z19sharedMemReadSpeed1Pfm.kd
    .uniform_work_group_size: 1
    .uses_dynamic_stack: false
    .vgpr_count:     36
    .vgpr_spill_count: 0
    .wavefront_size: 32
  - .args:
      - .address_space:  global
        .offset:         0
        .size:           8
        .value_kind:     global_buffer
      - .offset:         8
        .size:           8
        .value_kind:     by_value
      - .offset:         16
        .size:           4
        .value_kind:     hidden_block_count_x
      - .offset:         20
        .size:           4
        .value_kind:     hidden_block_count_y
      - .offset:         24
        .size:           4
        .value_kind:     hidden_block_count_z
      - .offset:         28
        .size:           2
        .value_kind:     hidden_group_size_x
      - .offset:         30
        .size:           2
        .value_kind:     hidden_group_size_y
      - .offset:         32
        .size:           2
        .value_kind:     hidden_group_size_z
      - .offset:         34
        .size:           2
        .value_kind:     hidden_remainder_x
      - .offset:         36
        .size:           2
        .value_kind:     hidden_remainder_y
      - .offset:         38
        .size:           2
        .value_kind:     hidden_remainder_z
      - .offset:         56
        .size:           8
        .value_kind:     hidden_global_offset_x
      - .offset:         64
        .size:           8
        .value_kind:     hidden_global_offset_y
      - .offset:         72
        .size:           8
        .value_kind:     hidden_global_offset_z
      - .offset:         80
        .size:           2
        .value_kind:     hidden_grid_dims
    .group_segment_fixed_size: 1024
    .kernarg_segment_align: 8
    .kernarg_segment_size: 272
    .language:       OpenCL C
    .language_version:
      - 2
      - 0
    .max_flat_workgroup_size: 1024
    .name:           _Z19sharedMemReadSpeed2Pfm
    .private_segment_fixed_size: 0
    .sgpr_count:     8
    .sgpr_spill_count: 0
    .symbol:         _Z19sharedMemReadSpeed2Pfm.kd
    .uniform_work_group_size: 1
    .uses_dynamic_stack: false
    .vgpr_count:     12
    .vgpr_spill_count: 0
    .wavefront_size: 32
amdhsa.target:   amdgcn-amd-amdhsa--gfx1250
amdhsa.version:
  - 1
  - 2
...

	.end_amdgpu_metadata
